;; amdgpu-corpus repo=ROCm/rocFFT kind=compiled arch=gfx1201 opt=O3
	.text
	.amdgcn_target "amdgcn-amd-amdhsa--gfx1201"
	.amdhsa_code_object_version 6
	.protected	bluestein_single_fwd_len1792_dim1_sp_op_CI_CI ; -- Begin function bluestein_single_fwd_len1792_dim1_sp_op_CI_CI
	.globl	bluestein_single_fwd_len1792_dim1_sp_op_CI_CI
	.p2align	8
	.type	bluestein_single_fwd_len1792_dim1_sp_op_CI_CI,@function
bluestein_single_fwd_len1792_dim1_sp_op_CI_CI: ; @bluestein_single_fwd_len1792_dim1_sp_op_CI_CI
; %bb.0:
	s_load_b128 s[8:11], s[0:1], 0x28
	v_mul_u32_u24_e32 v1, 0x125, v0
	s_mov_b32 s2, exec_lo
	v_mov_b32_e32 v65, 0
	s_delay_alu instid0(VALU_DEP_2) | instskip(NEXT) | instid1(VALU_DEP_1)
	v_lshrrev_b32_e32 v1, 16, v1
	v_add_nc_u32_e32 v64, ttmp9, v1
	s_wait_kmcnt 0x0
	s_delay_alu instid0(VALU_DEP_1)
	v_cmpx_gt_u64_e64 s[8:9], v[64:65]
	s_cbranch_execz .LBB0_10
; %bb.1:
	s_load_b128 s[4:7], s[0:1], 0x18
	v_mul_lo_u16 v1, 0xe0, v1
                                        ; implicit-def: $vgpr50
                                        ; implicit-def: $vgpr54
                                        ; implicit-def: $vgpr91
	s_delay_alu instid0(VALU_DEP_1) | instskip(NEXT) | instid1(VALU_DEP_1)
	v_sub_nc_u16 v0, v0, v1
	v_and_b32_e32 v95, 0xffff, v0
	s_wait_kmcnt 0x0
	s_load_b128 s[12:15], s[4:5], 0x0
	s_wait_kmcnt 0x0
	v_mad_co_u64_u32 v[1:2], null, s14, v64, 0
	v_mad_co_u64_u32 v[3:4], null, s12, v95, 0
	s_mul_u64 s[2:3], s[12:13], 0xe00
	s_mul_i32 s4, s13, 0xffffdd00
	s_delay_alu instid0(SALU_CYCLE_1) | instskip(NEXT) | instid1(VALU_DEP_1)
	s_sub_co_i32 s4, s4, s12
	v_mad_co_u64_u32 v[5:6], null, s15, v64, v[2:3]
	s_delay_alu instid0(VALU_DEP_1) | instskip(NEXT) | instid1(VALU_DEP_3)
	v_mov_b32_e32 v2, v5
	v_mad_co_u64_u32 v[6:7], null, s13, v95, v[4:5]
	v_lshlrev_b32_e32 v96, 3, v95
	v_lshlrev_b32_e32 v99, 5, v95
	s_delay_alu instid0(VALU_DEP_4) | instskip(SKIP_1) | instid1(VALU_DEP_2)
	v_lshlrev_b64_e32 v[1:2], 3, v[1:2]
	v_and_b32_e32 v28, 15, v95
	v_add_co_u32 v1, vcc_lo, s10, v1
	s_delay_alu instid0(VALU_DEP_3)
	v_add_co_ci_u32_e32 v2, vcc_lo, s11, v2, vcc_lo
	s_load_b128 s[8:11], s[0:1], 0x0
	s_wait_kmcnt 0x0
	s_clause 0x2
	global_load_b64 v[75:76], v96, s[8:9]
	global_load_b64 v[67:68], v96, s[8:9] offset:7168
	global_load_b64 v[69:70], v96, s[8:9] offset:10752
	v_mov_b32_e32 v4, v6
	s_load_b64 s[0:1], s[0:1], 0x38
	s_delay_alu instid0(VALU_DEP_1) | instskip(NEXT) | instid1(VALU_DEP_1)
	v_lshlrev_b64_e32 v[3:4], 3, v[3:4]
	v_add_co_u32 v1, vcc_lo, v1, v3
	s_wait_alu 0xfffd
	s_delay_alu instid0(VALU_DEP_2)
	v_add_co_ci_u32_e32 v2, vcc_lo, v2, v4, vcc_lo
	global_load_b64 v[11:12], v[1:2], off
	global_load_b64 v[65:66], v96, s[8:9] offset:5376
	v_add_co_u32 v3, vcc_lo, v1, s2
	s_wait_alu 0xfffd
	v_add_co_ci_u32_e32 v4, vcc_lo, s3, v2, vcc_lo
	s_clause 0x1
	global_load_b64 v[79:80], v96, s[8:9] offset:3584
	global_load_b64 v[77:78], v96, s[8:9] offset:1792
	v_add_co_u32 v5, vcc_lo, v3, s2
	s_wait_alu 0xfffd
	v_add_co_ci_u32_e32 v6, vcc_lo, s3, v4, vcc_lo
	global_load_b64 v[13:14], v[3:4], off
	v_add_co_u32 v7, vcc_lo, v5, s2
	s_wait_alu 0xfffd
	v_add_co_ci_u32_e32 v8, vcc_lo, s3, v6, vcc_lo
	s_delay_alu instid0(VALU_DEP_1)
	v_mad_co_u64_u32 v[9:10], null, 0xffffdd00, s12, v[7:8]
	s_clause 0x1
	global_load_b64 v[5:6], v[5:6], off
	global_load_b64 v[7:8], v[7:8], off
	v_add_co_u32 v1, vcc_lo, v9, s2
	s_wait_loadcnt 0x6
	v_dual_mul_f32 v21, v12, v76 :: v_dual_add_nc_u32 v10, s4, v10
	s_delay_alu instid0(VALU_DEP_1) | instskip(SKIP_1) | instid1(VALU_DEP_2)
	v_fmac_f32_e32 v21, v11, v75
	s_wait_alu 0xfffd
	v_add_co_ci_u32_e32 v2, vcc_lo, s3, v10, vcc_lo
	v_add_co_u32 v3, vcc_lo, v1, s2
	global_load_b64 v[9:10], v[9:10], off
	s_wait_alu 0xfffd
	v_add_co_ci_u32_e32 v4, vcc_lo, s3, v2, vcc_lo
	global_load_b64 v[15:16], v[1:2], off
	v_add_co_u32 v1, vcc_lo, v3, s2
	s_wait_alu 0xfffd
	v_add_co_ci_u32_e32 v2, vcc_lo, s3, v4, vcc_lo
	s_clause 0x1
	global_load_b64 v[71:72], v96, s[8:9] offset:12544
	global_load_b64 v[73:74], v96, s[8:9] offset:8960
	global_load_b64 v[17:18], v[3:4], off
	global_load_b64 v[19:20], v[1:2], off
	v_mul_f32_e32 v1, v11, v76
	s_wait_loadcnt 0x8
	v_mul_f32_e32 v24, v13, v80
	s_wait_loadcnt 0x7
	v_mul_f32_e32 v23, v6, v68
	v_add_nc_u32_e32 v4, 0x2a00, v96
	v_mul_f32_e32 v11, v14, v80
	v_fma_f32 v22, v12, v75, -v1
	v_mul_f32_e32 v1, v5, v68
	v_fmac_f32_e32 v23, v5, v67
	s_wait_loadcnt 0x6
	v_mul_f32_e32 v5, v8, v70
	v_fma_f32 v12, v14, v79, -v24
	v_dual_fmac_f32 v11, v13, v79 :: v_dual_add_nc_u32 v2, 0xe00, v96
	v_fma_f32 v24, v6, v67, -v1
	v_mul_f32_e32 v1, v7, v70
	v_add_nc_u32_e32 v3, 0x1c00, v96
	v_fmac_f32_e32 v5, v7, v69
	s_load_b128 s[4:7], s[6:7], 0x0
	v_add_co_u32 v89, s2, s8, v96
	v_fma_f32 v6, v8, v69, -v1
	s_wait_alu 0xf1ff
	v_add_co_ci_u32_e64 v90, null, s9, 0, s2
	v_cmp_gt_u16_e32 vcc_lo, 32, v0
	s_wait_loadcnt 0x5
	v_mul_f32_e32 v13, v10, v78
	v_mul_f32_e32 v14, v9, v78
	s_wait_loadcnt 0x4
	v_mul_f32_e32 v7, v16, v66
	v_mul_f32_e32 v1, v15, v66
	v_fmac_f32_e32 v13, v9, v77
	v_fma_f32 v14, v10, v77, -v14
	s_wait_loadcnt 0x1
	v_dual_mul_f32 v10, v17, v74 :: v_dual_fmac_f32 v7, v15, v65
	s_wait_loadcnt 0x0
	v_mul_f32_e32 v15, v20, v72
	v_mul_f32_e32 v25, v19, v72
	v_fma_f32 v8, v16, v65, -v1
	v_add_co_u32 v1, null, 0xe0, v95
	v_mul_f32_e32 v9, v18, v74
	v_fma_f32 v10, v18, v73, -v10
	v_fmac_f32_e32 v15, v19, v71
	v_fma_f32 v16, v20, v71, -v25
	v_lshlrev_b32_e32 v34, 2, v1
	v_fmac_f32_e32 v9, v17, v73
	ds_store_b64 v96, v[11:12] offset:3584
	ds_store_b64 v96, v[23:24] offset:7168
	;; [unrolled: 1-line block ×3, first 2 shown]
	ds_store_2addr_b64 v96, v[21:22], v[13:14] offset1:224
	ds_store_b64 v96, v[7:8] offset:5376
	ds_store_b64 v96, v[9:10] offset:8960
	ds_store_b64 v96, v[15:16] offset:12544
	global_wb scope:SCOPE_SE
	s_wait_dscnt 0x0
	s_wait_kmcnt 0x0
	s_barrier_signal -1
	s_barrier_wait -1
	global_inv scope:SCOPE_SE
	ds_load_2addr_b64 v[5:8], v96 offset1:224
	ds_load_2addr_b64 v[9:12], v3 offset1:224
	;; [unrolled: 1-line block ×4, first 2 shown]
	v_and_b32_e32 v25, 3, v95
	v_lshlrev_b32_e32 v97, 5, v1
	global_wb scope:SCOPE_SE
	s_wait_dscnt 0x0
	s_barrier_signal -1
	s_barrier_wait -1
	v_mad_co_u64_u32 v[23:24], null, v25, 24, s[10:11]
	global_inv scope:SCOPE_SE
	v_dual_sub_f32 v21, v5, v9 :: v_dual_sub_f32 v22, v6, v10
	v_dual_sub_f32 v10, v13, v17 :: v_dual_sub_f32 v9, v14, v18
	;; [unrolled: 1-line block ×4, first 2 shown]
	s_delay_alu instid0(VALU_DEP_4)
	v_fma_f32 v5, v5, 2.0, -v21
	v_fma_f32 v6, v6, 2.0, -v22
	;; [unrolled: 1-line block ×8, first 2 shown]
	v_dual_sub_f32 v9, v21, v9 :: v_dual_add_f32 v10, v22, v10
	v_dual_sub_f32 v7, v5, v17 :: v_dual_sub_f32 v8, v6, v18
	v_dual_sub_f32 v13, v26, v12 :: v_dual_add_f32 v14, v27, v11
	s_delay_alu instid0(VALU_DEP_4) | instskip(NEXT) | instid1(VALU_DEP_4)
	v_dual_sub_f32 v11, v19, v15 :: v_dual_sub_f32 v12, v20, v16
	v_fma_f32 v17, v21, 2.0, -v9
	v_fma_f32 v18, v22, 2.0, -v10
	;; [unrolled: 1-line block ×8, first 2 shown]
	ds_store_b128 v99, v[15:18]
	ds_store_b128 v99, v[7:10] offset:16
	ds_store_b128 v97, v[19:22]
	ds_store_b128 v97, v[11:14] offset:16
	global_wb scope:SCOPE_SE
	s_wait_dscnt 0x0
	s_barrier_signal -1
	s_barrier_wait -1
	global_inv scope:SCOPE_SE
	s_clause 0x1
	global_load_b128 v[8:11], v[23:24], off
	global_load_b64 v[81:82], v[23:24], off offset:16
	ds_load_2addr_b64 v[12:15], v2 offset1:224
	ds_load_2addr_b64 v[16:19], v3 offset1:224
	;; [unrolled: 1-line block ×3, first 2 shown]
	v_lshlrev_b32_e32 v7, 2, v95
	v_mad_co_u64_u32 v[5:6], null, v28, 24, s[10:11]
	s_wait_loadcnt_dscnt 0x102
	v_mul_f32_e32 v36, v15, v9
	s_delay_alu instid0(VALU_DEP_3)
	v_and_or_b32 v24, 0x3f0, v7, v25
	v_and_or_b32 v25, 0x7f0, v34, v25
	v_mul_f32_e32 v29, v13, v9
	s_wait_dscnt 0x1
	v_dual_mul_f32 v30, v12, v9 :: v_dual_mul_f32 v31, v17, v11
	v_lshlrev_b32_e32 v100, 3, v24
	v_lshlrev_b32_e32 v98, 3, v25
	ds_load_2addr_b64 v[24:27], v96 offset1:224
	s_wait_loadcnt_dscnt 0x1
	v_dual_mul_f32 v32, v16, v11 :: v_dual_mul_f32 v33, v21, v82
	v_mul_f32_e32 v35, v20, v82
	v_dual_mul_f32 v37, v14, v9 :: v_dual_mul_f32 v38, v19, v11
	v_dual_mul_f32 v39, v18, v11 :: v_dual_mul_f32 v40, v23, v82
	v_mul_f32_e32 v41, v22, v82
	v_fma_f32 v12, v12, v8, -v29
	v_fmac_f32_e32 v30, v13, v8
	v_fma_f32 v13, v16, v10, -v31
	v_fmac_f32_e32 v32, v17, v10
	;; [unrolled: 2-line block ×6, first 2 shown]
	s_wait_dscnt 0x0
	v_dual_sub_f32 v18, v24, v13 :: v_dual_sub_f32 v19, v25, v32
	v_dual_sub_f32 v13, v12, v16 :: v_dual_sub_f32 v16, v30, v35
	v_sub_f32_e32 v22, v26, v15
	v_sub_f32_e32 v23, v27, v39
	;; [unrolled: 1-line block ×4, first 2 shown]
	v_fma_f32 v24, v24, 2.0, -v18
	v_fma_f32 v25, v25, 2.0, -v19
	v_fma_f32 v20, v12, 2.0, -v13
	v_fma_f32 v21, v30, 2.0, -v16
	v_fma_f32 v26, v26, 2.0, -v22
	v_fma_f32 v27, v27, 2.0, -v23
	v_fma_f32 v29, v14, 2.0, -v15
	v_fma_f32 v30, v37, 2.0, -v17
	v_dual_sub_f32 v12, v18, v16 :: v_dual_add_f32 v13, v19, v13
	v_sub_f32_e32 v14, v22, v17
	v_dual_sub_f32 v16, v24, v20 :: v_dual_sub_f32 v17, v25, v21
	v_dual_add_f32 v15, v23, v15 :: v_dual_sub_f32 v20, v26, v29
	v_sub_f32_e32 v21, v27, v30
	v_fma_f32 v18, v18, 2.0, -v12
	v_fma_f32 v19, v19, 2.0, -v13
	;; [unrolled: 1-line block ×8, first 2 shown]
	global_wb scope:SCOPE_SE
	s_barrier_signal -1
	s_barrier_wait -1
	global_inv scope:SCOPE_SE
	ds_store_2addr_b64 v100, v[16:17], v[12:13] offset0:8 offset1:12
	ds_store_2addr_b64 v100, v[24:25], v[18:19] offset1:4
	ds_store_2addr_b64 v98, v[26:27], v[22:23] offset1:4
	ds_store_2addr_b64 v98, v[20:21], v[14:15] offset0:8 offset1:12
	global_wb scope:SCOPE_SE
	s_wait_dscnt 0x0
	s_barrier_signal -1
	s_barrier_wait -1
	global_inv scope:SCOPE_SE
	s_clause 0x1
	global_load_b128 v[16:19], v[5:6], off offset:96
	global_load_b64 v[83:84], v[5:6], off offset:112
	ds_load_2addr_b64 v[12:15], v2 offset1:224
	ds_load_2addr_b64 v[20:23], v3 offset1:224
	;; [unrolled: 1-line block ×3, first 2 shown]
	v_and_or_b32 v29, 0x3c0, v7, v28
	v_and_or_b32 v28, 0x7c0, v34, v28
	v_and_b32_e32 v36, 63, v1
	s_delay_alu instid0(VALU_DEP_3) | instskip(NEXT) | instid1(VALU_DEP_3)
	v_lshlrev_b32_e32 v104, 3, v29
	v_lshlrev_b32_e32 v103, 3, v28
	ds_load_2addr_b64 v[28:31], v96 offset1:224
	v_mad_co_u64_u32 v[32:33], null, v36, 24, s[10:11]
	global_wb scope:SCOPE_SE
	s_wait_loadcnt_dscnt 0x0
	s_barrier_signal -1
	s_barrier_wait -1
	global_inv scope:SCOPE_SE
	v_mul_f32_e32 v37, v13, v17
	v_dual_mul_f32 v38, v12, v17 :: v_dual_mul_f32 v39, v21, v19
	v_dual_mul_f32 v40, v20, v19 :: v_dual_mul_f32 v41, v25, v84
	;; [unrolled: 1-line block ×5, first 2 shown]
	v_mul_f32_e32 v48, v26, v84
	v_fma_f32 v12, v12, v16, -v37
	v_fmac_f32_e32 v38, v13, v16
	v_fma_f32 v13, v20, v18, -v39
	v_fmac_f32_e32 v40, v21, v18
	;; [unrolled: 2-line block ×6, first 2 shown]
	v_dual_sub_f32 v22, v28, v13 :: v_dual_sub_f32 v23, v29, v40
	v_dual_sub_f32 v13, v12, v20 :: v_dual_sub_f32 v20, v38, v42
	;; [unrolled: 1-line block ×3, first 2 shown]
	v_sub_f32_e32 v15, v14, v21
	v_sub_f32_e32 v21, v44, v48
	v_fma_f32 v28, v28, 2.0, -v22
	v_fma_f32 v29, v29, 2.0, -v23
	;; [unrolled: 1-line block ×4, first 2 shown]
	v_and_b32_e32 v35, 63, v95
	v_fma_f32 v30, v30, 2.0, -v26
	v_fma_f32 v31, v31, 2.0, -v27
	;; [unrolled: 1-line block ×3, first 2 shown]
	v_sub_f32_e32 v14, v26, v21
	v_fma_f32 v38, v44, 2.0, -v21
	v_dual_sub_f32 v12, v22, v20 :: v_dual_add_f32 v13, v23, v13
	v_dual_sub_f32 v20, v28, v24 :: v_dual_sub_f32 v21, v29, v25
	v_mad_co_u64_u32 v[5:6], null, v35, 24, s[10:11]
	v_dual_add_f32 v15, v27, v15 :: v_dual_sub_f32 v24, v30, v37
	v_sub_f32_e32 v25, v31, v38
	v_fma_f32 v22, v22, 2.0, -v12
	v_fma_f32 v23, v23, 2.0, -v13
	;; [unrolled: 1-line block ×8, first 2 shown]
	ds_store_2addr_b64 v104, v[20:21], v[12:13] offset0:32 offset1:48
	ds_store_2addr_b64 v104, v[28:29], v[22:23] offset1:16
	ds_store_2addr_b64 v103, v[30:31], v[26:27] offset1:16
	ds_store_2addr_b64 v103, v[24:25], v[14:15] offset0:32 offset1:48
	global_wb scope:SCOPE_SE
	s_wait_dscnt 0x0
	s_barrier_signal -1
	s_barrier_wait -1
	global_inv scope:SCOPE_SE
	s_clause 0x3
	global_load_b128 v[24:27], v[5:6], off offset:480
	global_load_b64 v[87:88], v[5:6], off offset:496
	global_load_b128 v[20:23], v[32:33], off offset:480
	global_load_b64 v[85:86], v[32:33], off offset:496
	ds_load_2addr_b64 v[12:15], v2 offset1:224
	ds_load_2addr_b64 v[28:31], v3 offset1:224
	;; [unrolled: 1-line block ×3, first 2 shown]
	v_and_or_b32 v6, 0x300, v7, v35
	v_and_or_b32 v7, 0x700, v34, v36
	ds_load_2addr_b64 v[32:35], v96 offset1:224
	global_wb scope:SCOPE_SE
	s_wait_loadcnt_dscnt 0x0
	s_barrier_signal -1
	v_lshlrev_b32_e32 v102, 3, v6
	v_lshlrev_b32_e32 v101, 3, v7
	s_barrier_wait -1
	global_inv scope:SCOPE_SE
	v_mul_f32_e32 v6, v13, v25
	v_dual_mul_f32 v7, v12, v25 :: v_dual_mul_f32 v36, v29, v27
	v_dual_mul_f32 v37, v28, v27 :: v_dual_mul_f32 v38, v3, v88
	;; [unrolled: 1-line block ×5, first 2 shown]
	v_mul_f32_e32 v45, v4, v86
	v_fma_f32 v6, v12, v24, -v6
	v_fmac_f32_e32 v7, v13, v24
	v_fma_f32 v12, v28, v26, -v36
	v_fmac_f32_e32 v37, v29, v26
	;; [unrolled: 2-line block ×5, first 2 shown]
	v_fma_f32 v4, v4, v85, -v44
	v_dual_fmac_f32 v45, v5, v85 :: v_dual_sub_f32 v12, v32, v12
	v_dual_sub_f32 v14, v33, v37 :: v_dual_sub_f32 v5, v6, v2
	v_sub_f32_e32 v2, v7, v39
	v_sub_f32_e32 v15, v34, v3
	;; [unrolled: 1-line block ×5, first 2 shown]
	v_fma_f32 v30, v32, 2.0, -v12
	v_fma_f32 v31, v33, 2.0, -v14
	;; [unrolled: 1-line block ×4, first 2 shown]
	v_sub_f32_e32 v2, v12, v2
	v_fma_f32 v32, v34, 2.0, -v15
	v_fma_f32 v33, v35, 2.0, -v28
	;; [unrolled: 1-line block ×4, first 2 shown]
	v_add_f32_e32 v3, v14, v5
	v_dual_sub_f32 v40, v15, v29 :: v_dual_add_f32 v41, v28, v4
	v_dual_sub_f32 v4, v30, v6 :: v_dual_sub_f32 v5, v31, v7
	v_fma_f32 v6, v12, 2.0, -v2
	v_dual_sub_f32 v12, v32, v13 :: v_dual_sub_f32 v13, v33, v34
	v_fma_f32 v7, v14, 2.0, -v3
	v_fma_f32 v14, v15, 2.0, -v40
	;; [unrolled: 1-line block ×7, first 2 shown]
	ds_store_2addr_stride64_b64 v102, v[28:29], v[6:7] offset1:1
	ds_store_2addr_stride64_b64 v102, v[4:5], v[2:3] offset0:2 offset1:3
	ds_store_2addr_stride64_b64 v101, v[30:31], v[14:15] offset1:1
	ds_store_2addr_stride64_b64 v101, v[12:13], v[40:41] offset0:2 offset1:3
	global_wb scope:SCOPE_SE
	s_wait_dscnt 0x0
	s_barrier_signal -1
	s_barrier_wait -1
	global_inv scope:SCOPE_SE
	ds_load_2addr_stride64_b64 v[44:47], v96 offset1:4
	ds_load_2addr_stride64_b64 v[60:63], v96 offset0:8 offset1:12
	ds_load_2addr_stride64_b64 v[56:59], v96 offset0:16 offset1:20
	ds_load_b64 v[93:94], v96 offset:12288
	s_and_saveexec_b32 s2, vcc_lo
	s_cbranch_execz .LBB0_3
; %bb.2:
	v_add_nc_u32_e32 v0, 0x100, v96
	ds_load_2addr_stride64_b64 v[40:43], v0 offset0:3 offset1:7
	ds_load_2addr_stride64_b64 v[48:51], v0 offset0:11 offset1:15
	;; [unrolled: 1-line block ×3, first 2 shown]
	ds_load_b64 v[91:92], v96 offset:14080
.LBB0_3:
	s_wait_alu 0xfffe
	s_or_b32 exec_lo, exec_lo, s2
	v_mad_co_u64_u32 v[2:3], null, v95, 48, s[10:11]
	s_clause 0x2
	global_load_b128 v[36:39], v[2:3], off offset:2016
	global_load_b128 v[32:35], v[2:3], off offset:2032
	;; [unrolled: 1-line block ×3, first 2 shown]
	s_wait_loadcnt_dscnt 0x202
	v_dual_mul_f32 v107, v61, v39 :: v_dual_and_b32 v0, 0xff, v1
	s_delay_alu instid0(VALU_DEP_1)
	v_mad_co_u64_u32 v[12:13], null, v0, 48, s[10:11]
	v_dual_mul_f32 v105, v47, v37 :: v_dual_mul_f32 v108, v60, v39
	s_wait_loadcnt_dscnt 0x101
	v_dual_mul_f32 v106, v46, v37 :: v_dual_mul_f32 v111, v57, v35
	v_dual_mul_f32 v109, v63, v33 :: v_dual_mul_f32 v112, v56, v35
	s_clause 0x2
	global_load_b128 v[4:7], v[12:13], off offset:2016
	global_load_b128 v[0:3], v[12:13], off offset:2032
	;; [unrolled: 1-line block ×3, first 2 shown]
	v_mul_f32_e32 v110, v62, v33
	s_wait_loadcnt_dscnt 0x300
	v_dual_mul_f32 v113, v59, v29 :: v_dual_mul_f32 v116, v93, v31
	v_mul_f32_e32 v114, v58, v29
	v_dual_mul_f32 v115, v94, v31 :: v_dual_fmac_f32 v106, v47, v36
	v_fma_f32 v46, v46, v36, -v105
	v_fma_f32 v47, v60, v38, -v107
	v_fmac_f32_e32 v108, v61, v38
	v_fma_f32 v60, v62, v32, -v109
	v_fmac_f32_e32 v110, v63, v32
	v_fma_f32 v56, v56, v34, -v111
	v_fmac_f32_e32 v112, v57, v34
	v_fma_f32 v57, v58, v28, -v113
	v_fma_f32 v58, v93, v30, -v115
	v_fmac_f32_e32 v116, v94, v30
	s_wait_loadcnt 0x2
	v_dual_mul_f32 v61, v42, v5 :: v_dual_mul_f32 v62, v49, v7
	s_wait_loadcnt 0x0
	v_mul_f32_e32 v111, v54, v13
	v_mul_f32_e32 v63, v48, v7
	v_dual_mul_f32 v105, v53, v3 :: v_dual_fmac_f32 v114, v59, v28
	v_mul_f32_e32 v107, v52, v3
	v_mul_f32_e32 v59, v43, v5
	v_mul_f32_e32 v93, v51, v1
	v_dual_mul_f32 v94, v50, v1 :: v_dual_mul_f32 v113, v92, v15
	v_mul_f32_e32 v109, v55, v13
	v_mul_f32_e32 v115, v91, v15
	v_fmac_f32_e32 v61, v43, v4
	s_delay_alu instid0(VALU_DEP_4)
	v_dual_fmac_f32 v63, v49, v6 :: v_dual_fmac_f32 v94, v51, v0
	v_fma_f32 v49, v52, v2, -v105
	v_fmac_f32_e32 v107, v53, v2
	v_dual_fmac_f32 v111, v55, v12 :: v_dual_add_f32 v52, v46, v58
	v_add_f32_e32 v53, v106, v116
	v_sub_f32_e32 v46, v46, v58
	v_add_f32_e32 v58, v108, v114
	v_fma_f32 v42, v42, v4, -v59
	v_fma_f32 v43, v48, v6, -v62
	;; [unrolled: 1-line block ×5, first 2 shown]
	v_dual_fmac_f32 v115, v92, v14 :: v_dual_add_f32 v62, v110, v112
	v_dual_sub_f32 v54, v106, v116 :: v_dual_add_f32 v55, v47, v57
	v_add_f32_e32 v59, v60, v56
	v_dual_sub_f32 v47, v47, v57 :: v_dual_sub_f32 v56, v56, v60
	v_sub_f32_e32 v60, v112, v110
	v_dual_sub_f32 v57, v108, v114 :: v_dual_add_f32 v92, v58, v53
	v_add_f32_e32 v91, v55, v52
	v_sub_f32_e32 v93, v55, v52
	v_sub_f32_e32 v105, v58, v53
	v_sub_f32_e32 v53, v53, v62
	v_sub_f32_e32 v58, v62, v58
	v_sub_f32_e32 v52, v52, v59
	v_sub_f32_e32 v106, v59, v55
	v_add_f32_e32 v55, v56, v47
	v_add_f32_e32 v108, v60, v57
	v_sub_f32_e32 v109, v56, v47
	v_sub_f32_e32 v110, v60, v57
	v_dual_sub_f32 v60, v54, v60 :: v_dual_sub_f32 v47, v47, v46
	v_dual_add_f32 v112, v42, v51 :: v_dual_sub_f32 v57, v57, v54
	v_sub_f32_e32 v42, v42, v51
	v_dual_add_f32 v113, v61, v115 :: v_dual_add_f32 v62, v62, v92
	v_sub_f32_e32 v51, v61, v115
	v_dual_add_f32 v61, v43, v50 :: v_dual_mul_f32 v52, 0x3f4a47b2, v52
	v_add_f32_e32 v114, v63, v111
	v_sub_f32_e32 v43, v43, v50
	v_dual_sub_f32 v50, v63, v111 :: v_dual_add_f32 v63, v48, v49
	v_dual_sub_f32 v48, v49, v48 :: v_dual_sub_f32 v49, v107, v94
	s_delay_alu instid0(VALU_DEP_4)
	v_add_f32_e32 v116, v114, v113
	v_sub_f32_e32 v56, v46, v56
	v_dual_add_f32 v111, v94, v107 :: v_dual_mul_f32 v92, 0x3d64c772, v106
	v_dual_add_f32 v59, v59, v91 :: v_dual_mul_f32 v94, 0x3d64c772, v58
	v_add_f32_e32 v46, v55, v46
	v_add_f32_e32 v91, v108, v54
	v_mul_f32_e32 v53, 0x3f4a47b2, v53
	v_dual_mul_f32 v107, 0xbf08b237, v109 :: v_dual_mul_f32 v108, 0xbf08b237, v110
	v_dual_mul_f32 v109, 0x3f5ff5aa, v47 :: v_dual_sub_f32 v118, v114, v113
	v_dual_mul_f32 v110, 0x3f5ff5aa, v57 :: v_dual_add_f32 v115, v61, v112
	v_dual_sub_f32 v114, v111, v114 :: v_dual_sub_f32 v117, v61, v112
	v_dual_sub_f32 v112, v112, v63 :: v_dual_sub_f32 v61, v63, v61
	v_dual_add_f32 v120, v49, v50 :: v_dual_add_f32 v119, v48, v43
	v_dual_sub_f32 v122, v49, v50 :: v_dual_sub_f32 v121, v48, v43
	v_dual_sub_f32 v113, v113, v111 :: v_dual_sub_f32 v48, v42, v48
	v_dual_sub_f32 v49, v51, v49 :: v_dual_add_f32 v54, v44, v59
	v_dual_sub_f32 v43, v43, v42 :: v_dual_sub_f32 v50, v50, v51
	v_dual_add_f32 v55, v45, v62 :: v_dual_fmamk_f32 v44, v106, 0x3d64c772, v52
	v_dual_fmamk_f32 v45, v58, 0x3d64c772, v53 :: v_dual_add_f32 v42, v119, v42
	v_fma_f32 v58, 0x3f3bfb3b, v93, -v92
	v_fma_f32 v92, 0x3f3bfb3b, v105, -v94
	;; [unrolled: 1-line block ×4, first 2 shown]
	v_fmamk_f32 v94, v56, 0x3eae86e6, v107
	v_fma_f32 v47, 0x3f5ff5aa, v47, -v107
	v_fma_f32 v105, 0x3f5ff5aa, v57, -v108
	v_fma_f32 v106, 0xbeae86e6, v56, -v109
	v_fma_f32 v107, 0xbeae86e6, v60, -v110
	v_add_f32_e32 v56, v63, v115
	v_add_f32_e32 v57, v111, v116
	v_dual_add_f32 v51, v120, v51 :: v_dual_mul_f32 v110, 0xbf08b237, v121
	v_mul_f32_e32 v111, 0xbf08b237, v122
	v_fmamk_f32 v93, v60, 0x3eae86e6, v108
	v_mul_f32_e32 v60, 0x3f4a47b2, v112
	v_mul_f32_e32 v108, 0x3d64c772, v61
	v_dual_mul_f32 v63, 0x3f4a47b2, v113 :: v_dual_add_f32 v40, v40, v56
	v_mul_f32_e32 v109, 0x3d64c772, v114
	v_dual_mul_f32 v112, 0x3f5ff5aa, v43 :: v_dual_mul_f32 v113, 0x3f5ff5aa, v50
	v_dual_fmamk_f32 v59, v59, 0xbf955555, v54 :: v_dual_fmamk_f32 v62, v62, 0xbf955555, v55
	v_fma_f32 v108, 0x3f3bfb3b, v117, -v108
	v_fma_f32 v115, 0xbf3bfb3b, v117, -v60
	v_fmamk_f32 v117, v48, 0x3eae86e6, v110
	v_fma_f32 v110, 0x3f5ff5aa, v43, -v110
	v_fmac_f32_e32 v94, 0x3ee1c552, v46
	v_fmac_f32_e32 v47, 0x3ee1c552, v46
	v_dual_fmac_f32 v105, 0x3ee1c552, v91 :: v_dual_fmac_f32 v106, 0x3ee1c552, v46
	v_fmac_f32_e32 v107, 0x3ee1c552, v91
	v_dual_add_f32 v41, v41, v57 :: v_dual_fmamk_f32 v114, v114, 0x3d64c772, v63
	v_fmamk_f32 v46, v61, 0x3d64c772, v60
	v_fma_f32 v109, 0x3f3bfb3b, v118, -v109
	v_fma_f32 v116, 0xbf3bfb3b, v118, -v63
	v_fmamk_f32 v118, v49, 0x3eae86e6, v111
	v_fmac_f32_e32 v93, 0x3ee1c552, v91
	v_fma_f32 v50, 0x3f5ff5aa, v50, -v111
	v_fma_f32 v111, 0xbeae86e6, v48, -v112
	;; [unrolled: 1-line block ×3, first 2 shown]
	v_dual_add_f32 v43, v44, v59 :: v_dual_fmac_f32 v110, 0x3ee1c552, v42
	v_dual_add_f32 v44, v45, v62 :: v_dual_add_f32 v45, v58, v59
	v_add_f32_e32 v48, v92, v62
	v_dual_add_f32 v49, v52, v59 :: v_dual_add_f32 v52, v53, v62
	s_delay_alu instid0(VALU_DEP_4)
	v_dual_fmamk_f32 v53, v56, 0xbf955555, v40 :: v_dual_add_f32 v56, v93, v43
	v_dual_fmac_f32 v117, 0x3ee1c552, v42 :: v_dual_fmac_f32 v50, 0x3ee1c552, v51
	v_fmac_f32_e32 v118, 0x3ee1c552, v51
	v_sub_f32_e32 v60, v45, v105
	v_dual_fmamk_f32 v113, v57, 0xbf955555, v41 :: v_dual_add_f32 v58, v107, v49
	v_add_f32_e32 v61, v47, v48
	v_sub_f32_e32 v63, v48, v47
	v_dual_sub_f32 v91, v49, v107 :: v_dual_add_f32 v48, v108, v53
	v_dual_fmac_f32 v111, 0x3ee1c552, v42 :: v_dual_fmac_f32 v112, 0x3ee1c552, v51
	v_dual_sub_f32 v57, v44, v94 :: v_dual_add_f32 v62, v105, v45
	v_dual_sub_f32 v59, v52, v106 :: v_dual_add_f32 v92, v106, v52
	v_add_f32_e32 v52, v46, v53
	v_dual_add_f32 v51, v115, v53 :: v_dual_sub_f32 v46, v48, v50
	v_add_f32_e32 v105, v114, v113
	v_dual_add_f32 v53, v116, v113 :: v_dual_add_f32 v48, v50, v48
	s_delay_alu instid0(VALU_DEP_3)
	v_dual_add_f32 v49, v109, v113 :: v_dual_sub_f32 v50, v51, v112
	v_dual_sub_f32 v93, v43, v93 :: v_dual_add_f32 v42, v118, v52
	v_add_f32_e32 v94, v94, v44
	v_dual_add_f32 v44, v112, v51 :: v_dual_sub_f32 v43, v105, v117
	v_dual_sub_f32 v52, v52, v118 :: v_dual_sub_f32 v45, v53, v111
	v_add_f32_e32 v47, v110, v49
	v_sub_f32_e32 v49, v49, v110
	v_add_f32_e32 v51, v111, v53
	v_add_f32_e32 v53, v117, v105
	ds_store_2addr_stride64_b64 v96, v[54:55], v[56:57] offset1:4
	ds_store_2addr_stride64_b64 v96, v[58:59], v[60:61] offset0:8 offset1:12
	ds_store_2addr_stride64_b64 v96, v[62:63], v[91:92] offset0:16 offset1:20
	ds_store_b64 v96, v[93:94] offset:12288
	s_and_saveexec_b32 s2, vcc_lo
	s_cbranch_execz .LBB0_5
; %bb.4:
	v_add_nc_u32_e32 v54, 0x100, v96
	ds_store_2addr_stride64_b64 v54, v[40:41], v[42:43] offset0:3 offset1:7
	ds_store_2addr_stride64_b64 v54, v[44:45], v[46:47] offset0:11 offset1:15
	;; [unrolled: 1-line block ×3, first 2 shown]
	ds_store_b64 v96, v[52:53] offset:14080
.LBB0_5:
	s_wait_alu 0xfffe
	s_or_b32 exec_lo, exec_lo, s2
	global_wb scope:SCOPE_SE
	s_wait_dscnt 0x0
	s_barrier_signal -1
	s_barrier_wait -1
	global_inv scope:SCOPE_SE
	global_load_b64 v[40:41], v[89:90], off offset:14336
	v_lshlrev_b32_e32 v54, 3, v95
	s_add_nc_u64 s[2:3], s[8:9], 0x3800
	s_clause 0x6
	global_load_b64 v[62:63], v54, s[2:3] offset:5376
	global_load_b64 v[93:94], v54, s[2:3] offset:1792
	;; [unrolled: 1-line block ×7, first 2 shown]
	ds_load_2addr_b64 v[54:57], v96 offset1:224
	v_add_nc_u32_e32 v121, 0x2a00, v96
	v_add_nc_u32_e32 v119, 0xe00, v96
	v_add_nc_u32_e32 v120, 0x1c00, v96
	v_add_nc_u32_e32 v122, 0x700, v96
	s_wait_loadcnt_dscnt 0x700
	v_mul_f32_e32 v58, v55, v41
	v_mul_f32_e32 v59, v54, v41
	s_wait_loadcnt 0x5
	v_dual_mul_f32 v41, v56, v94 :: v_dual_add_nc_u32 v124, 0x2300, v96
	s_delay_alu instid0(VALU_DEP_3) | instskip(NEXT) | instid1(VALU_DEP_3)
	v_fma_f32 v58, v54, v40, -v58
	v_fmac_f32_e32 v59, v55, v40
	s_delay_alu instid0(VALU_DEP_3)
	v_fmac_f32_e32 v41, v57, v93
	v_mul_f32_e32 v40, v57, v94
	ds_store_b64 v96, v[58:59]
	ds_load_2addr_b64 v[58:61], v119 offset1:224
	ds_load_2addr_b64 v[89:92], v120 offset1:224
	ds_load_2addr_b64 v[105:108], v121 offset1:224
	v_add_nc_u32_e32 v123, 0x1500, v96
	v_fma_f32 v40, v56, v93, -v40
	s_wait_loadcnt_dscnt 0x402
	v_mul_f32_e32 v54, v59, v110
	v_mul_f32_e32 v55, v58, v110
	s_wait_loadcnt_dscnt 0x1
	v_dual_mul_f32 v56, v90, v112 :: v_dual_mul_f32 v125, v92, v118
	v_dual_mul_f32 v57, v89, v112 :: v_dual_mul_f32 v110, v60, v63
	s_wait_dscnt 0x0
	v_mul_f32_e32 v93, v106, v114
	v_mul_f32_e32 v94, v105, v114
	v_dual_mul_f32 v114, v61, v63 :: v_dual_fmac_f32 v55, v59, v109
	v_dual_mul_f32 v63, v91, v118 :: v_dual_mul_f32 v118, v108, v116
	s_delay_alu instid0(VALU_DEP_3)
	v_fmac_f32_e32 v94, v106, v113
	v_dual_mul_f32 v112, v107, v116 :: v_dual_fmac_f32 v57, v90, v111
	v_fma_f32 v54, v58, v109, -v54
	v_fma_f32 v56, v89, v111, -v56
	;; [unrolled: 1-line block ×3, first 2 shown]
	v_dual_fmac_f32 v110, v61, v62 :: v_dual_fmac_f32 v63, v92, v117
	v_fma_f32 v93, v105, v113, -v93
	v_fma_f32 v62, v91, v117, -v125
	;; [unrolled: 1-line block ×3, first 2 shown]
	v_fmac_f32_e32 v112, v108, v115
	ds_store_2addr_b64 v122, v[40:41], v[54:55] offset1:224
	ds_store_2addr_b64 v123, v[109:110], v[56:57] offset1:224
	;; [unrolled: 1-line block ×3, first 2 shown]
	ds_store_b64 v96, v[111:112] offset:12544
	global_wb scope:SCOPE_SE
	s_wait_dscnt 0x0
	s_barrier_signal -1
	s_barrier_wait -1
	global_inv scope:SCOPE_SE
	ds_load_2addr_b64 v[54:57], v96 offset1:224
	ds_load_2addr_b64 v[58:61], v120 offset1:224
	;; [unrolled: 1-line block ×4, first 2 shown]
	global_wb scope:SCOPE_SE
	s_wait_dscnt 0x0
	s_barrier_signal -1
	s_barrier_wait -1
	global_inv scope:SCOPE_SE
	v_sub_f32_e32 v94, v57, v61
	v_dual_sub_f32 v40, v54, v58 :: v_dual_sub_f32 v41, v55, v59
	v_sub_f32_e32 v61, v92, v108
	v_dual_sub_f32 v59, v89, v105 :: v_dual_sub_f32 v58, v90, v106
	v_sub_f32_e32 v93, v56, v60
	v_fma_f32 v106, v57, 2.0, -v94
	s_delay_alu instid0(VALU_DEP_4)
	v_fma_f32 v108, v92, 2.0, -v61
	v_sub_f32_e32 v60, v91, v107
	v_fma_f32 v54, v54, 2.0, -v40
	v_fma_f32 v55, v55, 2.0, -v41
	;; [unrolled: 1-line block ×5, first 2 shown]
	v_dual_add_f32 v62, v93, v61 :: v_dual_sub_f32 v61, v106, v108
	v_sub_f32_e32 v63, v94, v60
	v_fma_f32 v107, v91, 2.0, -v60
	v_dual_add_f32 v58, v40, v58 :: v_dual_sub_f32 v59, v41, v59
	v_dual_sub_f32 v56, v54, v89 :: v_dual_sub_f32 v57, v55, v90
	s_delay_alu instid0(VALU_DEP_3) | instskip(NEXT) | instid1(VALU_DEP_3)
	v_sub_f32_e32 v60, v105, v107
	v_fma_f32 v91, v40, 2.0, -v58
	s_delay_alu instid0(VALU_DEP_4) | instskip(NEXT) | instid1(VALU_DEP_4)
	v_fma_f32 v92, v41, 2.0, -v59
	v_fma_f32 v89, v54, 2.0, -v56
	;; [unrolled: 1-line block ×7, first 2 shown]
	ds_store_b128 v99, v[89:92]
	ds_store_b128 v99, v[56:59] offset:16
	ds_store_b128 v97, v[105:108]
	ds_store_b128 v97, v[60:63] offset:16
	global_wb scope:SCOPE_SE
	s_wait_dscnt 0x0
	s_barrier_signal -1
	s_barrier_wait -1
	global_inv scope:SCOPE_SE
	ds_load_2addr_b64 v[54:57], v119 offset1:224
	ds_load_2addr_b64 v[58:61], v120 offset1:224
	;; [unrolled: 1-line block ×4, first 2 shown]
	global_wb scope:SCOPE_SE
	s_wait_dscnt 0x0
	s_barrier_signal -1
	s_barrier_wait -1
	global_inv scope:SCOPE_SE
	v_dual_mul_f32 v40, v9, v55 :: v_dual_mul_f32 v63, v11, v58
	v_mul_f32_e32 v93, v82, v90
	v_dual_mul_f32 v41, v9, v54 :: v_dual_mul_f32 v62, v11, v59
	s_delay_alu instid0(VALU_DEP_3) | instskip(NEXT) | instid1(VALU_DEP_4)
	v_dual_mul_f32 v99, v11, v61 :: v_dual_fmac_f32 v40, v8, v54
	v_fma_f32 v54, v10, v59, -v63
	v_mul_f32_e32 v94, v82, v89
	v_mul_f32_e32 v97, v9, v57
	;; [unrolled: 1-line block ×3, first 2 shown]
	v_dual_mul_f32 v11, v11, v60 :: v_dual_fmac_f32 v62, v10, v58
	v_dual_fmac_f32 v93, v81, v89 :: v_dual_sub_f32 v58, v106, v54
	v_mul_f32_e32 v109, v82, v92
	v_mul_f32_e32 v82, v82, v91
	v_fma_f32 v41, v8, v55, -v41
	v_fma_f32 v55, v81, v90, -v94
	v_fmac_f32_e32 v97, v8, v56
	v_fma_f32 v56, v8, v57, -v9
	v_fma_f32 v9, v81, v92, -v82
	v_fmac_f32_e32 v99, v10, v60
	v_fma_f32 v8, v10, v61, -v11
	v_dual_sub_f32 v10, v40, v93 :: v_dual_fmac_f32 v109, v81, v91
	v_sub_f32_e32 v11, v41, v55
	v_sub_f32_e32 v55, v56, v9
	s_delay_alu instid0(VALU_DEP_4) | instskip(NEXT) | instid1(VALU_DEP_4)
	v_dual_sub_f32 v57, v105, v62 :: v_dual_sub_f32 v60, v108, v8
	v_fma_f32 v40, v40, 2.0, -v10
	v_sub_f32_e32 v9, v58, v10
	v_fma_f32 v62, v106, 2.0, -v58
	s_delay_alu instid0(VALU_DEP_4) | instskip(SKIP_3) | instid1(VALU_DEP_3)
	v_add_f32_e32 v8, v57, v11
	v_dual_sub_f32 v54, v97, v109 :: v_dual_sub_f32 v59, v107, v99
	v_fma_f32 v89, v56, 2.0, -v55
	v_fma_f32 v81, v108, 2.0, -v60
	;; [unrolled: 1-line block ×3, first 2 shown]
	s_delay_alu instid0(VALU_DEP_4) | instskip(SKIP_2) | instid1(VALU_DEP_2)
	v_add_f32_e32 v10, v59, v55
	v_fma_f32 v61, v105, 2.0, -v57
	v_fma_f32 v55, v58, 2.0, -v9
	v_sub_f32_e32 v40, v61, v40
	v_fma_f32 v63, v107, 2.0, -v59
	v_fma_f32 v58, v59, 2.0, -v10
	s_delay_alu instid0(VALU_DEP_2) | instskip(SKIP_4) | instid1(VALU_DEP_4)
	v_sub_f32_e32 v56, v63, v82
	v_fma_f32 v41, v41, 2.0, -v11
	v_sub_f32_e32 v11, v60, v54
	v_fma_f32 v54, v57, 2.0, -v8
	v_sub_f32_e32 v57, v81, v89
	v_sub_f32_e32 v41, v62, v41
	s_delay_alu instid0(VALU_DEP_4) | instskip(SKIP_1) | instid1(VALU_DEP_3)
	v_fma_f32 v59, v60, 2.0, -v11
	v_fma_f32 v60, v61, 2.0, -v40
	;; [unrolled: 1-line block ×5, first 2 shown]
	ds_store_2addr_b64 v100, v[40:41], v[8:9] offset0:8 offset1:12
	ds_store_2addr_b64 v100, v[60:61], v[54:55] offset1:4
	ds_store_2addr_b64 v98, v[62:63], v[58:59] offset1:4
	ds_store_2addr_b64 v98, v[56:57], v[10:11] offset0:8 offset1:12
	global_wb scope:SCOPE_SE
	s_wait_dscnt 0x0
	s_barrier_signal -1
	s_barrier_wait -1
	global_inv scope:SCOPE_SE
	ds_load_2addr_b64 v[8:11], v119 offset1:224
	ds_load_2addr_b64 v[54:57], v120 offset1:224
	ds_load_2addr_b64 v[58:61], v121 offset1:224
	ds_load_2addr_b64 v[89:92], v96 offset1:224
	global_wb scope:SCOPE_SE
	s_wait_dscnt 0x0
	s_barrier_signal -1
	s_barrier_wait -1
	global_inv scope:SCOPE_SE
	v_dual_mul_f32 v41, v17, v8 :: v_dual_mul_f32 v94, v19, v57
	v_mul_f32_e32 v62, v19, v55
	v_dual_mul_f32 v81, v84, v59 :: v_dual_mul_f32 v40, v17, v9
	v_mul_f32_e32 v82, v84, v58
	s_delay_alu instid0(VALU_DEP_4) | instskip(SKIP_3) | instid1(VALU_DEP_4)
	v_dual_fmac_f32 v94, v18, v56 :: v_dual_mul_f32 v63, v19, v54
	v_mul_f32_e32 v93, v17, v11
	v_mul_f32_e32 v17, v17, v10
	v_fmac_f32_e32 v62, v18, v54
	v_dual_sub_f32 v54, v91, v94 :: v_dual_mul_f32 v97, v84, v61
	v_mul_f32_e32 v84, v84, v60
	v_mul_f32_e32 v19, v19, v56
	v_fmac_f32_e32 v40, v16, v8
	v_fma_f32 v8, v16, v9, -v41
	v_fma_f32 v41, v83, v59, -v82
	v_fmac_f32_e32 v93, v16, v10
	v_fma_f32 v10, v16, v11, -v17
	v_fma_f32 v16, v83, v61, -v84
	;; [unrolled: 1-line block ×4, first 2 shown]
	v_dual_sub_f32 v18, v89, v62 :: v_dual_sub_f32 v17, v8, v41
	s_delay_alu instid0(VALU_DEP_4) | instskip(NEXT) | instid1(VALU_DEP_3)
	v_dual_fmac_f32 v81, v83, v58 :: v_dual_sub_f32 v16, v10, v16
	v_sub_f32_e32 v55, v92, v11
	s_delay_alu instid0(VALU_DEP_3)
	v_fma_f32 v56, v89, 2.0, -v18
	v_sub_f32_e32 v19, v90, v9
	v_fma_f32 v41, v8, 2.0, -v17
	v_add_f32_e32 v8, v18, v17
	v_sub_f32_e32 v9, v40, v81
	v_fma_f32 v61, v10, 2.0, -v16
	v_add_f32_e32 v10, v54, v16
	v_fmac_f32_e32 v97, v83, v60
	v_fma_f32 v58, v91, 2.0, -v54
	v_fma_f32 v40, v40, 2.0, -v9
	v_fma_f32 v59, v92, 2.0, -v55
	v_fma_f32 v18, v18, 2.0, -v8
	v_sub_f32_e32 v11, v93, v97
	v_fma_f32 v54, v54, 2.0, -v10
	v_sub_f32_e32 v16, v56, v40
	v_fma_f32 v57, v90, 2.0, -v19
	;; [unrolled: 2-line block ×4, first 2 shown]
	v_sub_f32_e32 v17, v57, v41
	s_delay_alu instid0(VALU_DEP_4) | instskip(SKIP_2) | instid1(VALU_DEP_4)
	v_dual_sub_f32 v41, v59, v61 :: v_dual_sub_f32 v40, v58, v60
	v_fma_f32 v19, v19, 2.0, -v9
	v_fma_f32 v55, v55, 2.0, -v11
	;; [unrolled: 1-line block ×3, first 2 shown]
	s_delay_alu instid0(VALU_DEP_4)
	v_fma_f32 v59, v59, 2.0, -v41
	v_fma_f32 v58, v58, 2.0, -v40
	ds_store_2addr_b64 v104, v[16:17], v[8:9] offset0:32 offset1:48
	ds_store_2addr_b64 v104, v[56:57], v[18:19] offset1:16
	ds_store_2addr_b64 v103, v[58:59], v[54:55] offset1:16
	ds_store_2addr_b64 v103, v[40:41], v[10:11] offset0:32 offset1:48
	global_wb scope:SCOPE_SE
	s_wait_dscnt 0x0
	s_barrier_signal -1
	s_barrier_wait -1
	global_inv scope:SCOPE_SE
	ds_load_2addr_b64 v[8:11], v119 offset1:224
	ds_load_2addr_b64 v[16:19], v120 offset1:224
	;; [unrolled: 1-line block ×4, first 2 shown]
	global_wb scope:SCOPE_SE
	s_wait_dscnt 0x0
	s_barrier_signal -1
	s_barrier_wait -1
	global_inv scope:SCOPE_SE
	v_mul_f32_e32 v81, v21, v11
	v_mul_f32_e32 v82, v23, v19
	;; [unrolled: 1-line block ×6, first 2 shown]
	v_fmac_f32_e32 v82, v22, v18
	v_fmac_f32_e32 v41, v26, v16
	v_mul_f32_e32 v25, v25, v8
	v_fmac_f32_e32 v81, v20, v10
	v_fma_f32 v10, v20, v11, -v21
	v_dual_sub_f32 v20, v60, v82 :: v_dual_mul_f32 v27, v27, v16
	v_dual_mul_f32 v23, v23, v18 :: v_dual_fmac_f32 v40, v24, v8
	v_fmac_f32_e32 v62, v87, v54
	v_sub_f32_e32 v18, v58, v41
	v_fma_f32 v8, v24, v9, -v25
	v_fma_f32 v9, v26, v17, -v27
	;; [unrolled: 1-line block ×3, first 2 shown]
	v_mul_f32_e32 v83, v86, v57
	v_fma_f32 v22, v58, 2.0, -v18
	s_delay_alu instid0(VALU_DEP_4) | instskip(SKIP_1) | instid1(VALU_DEP_4)
	v_dual_mul_f32 v84, v86, v56 :: v_dual_sub_f32 v19, v59, v9
	v_sub_f32_e32 v9, v40, v62
	v_fmac_f32_e32 v83, v85, v56
	v_sub_f32_e32 v21, v61, v11
	s_delay_alu instid0(VALU_DEP_4)
	v_fma_f32 v17, v85, v57, -v84
	v_fma_f32 v23, v59, 2.0, -v19
	v_fma_f32 v24, v40, 2.0, -v9
	v_mul_f32_e32 v63, v88, v54
	v_sub_f32_e32 v11, v81, v83
	v_sub_f32_e32 v17, v10, v17
	;; [unrolled: 1-line block ×3, first 2 shown]
	v_fma_f32 v26, v60, 2.0, -v20
	v_fma_f32 v16, v87, v55, -v63
	v_fma_f32 v27, v61, 2.0, -v21
	v_fma_f32 v54, v81, 2.0, -v11
	;; [unrolled: 1-line block ×3, first 2 shown]
	v_sub_f32_e32 v10, v22, v24
	v_dual_sub_f32 v16, v8, v16 :: v_dual_sub_f32 v41, v21, v11
	v_add_f32_e32 v40, v20, v17
	v_fma_f32 v17, v19, 2.0, -v9
	v_sub_f32_e32 v19, v27, v55
	s_delay_alu instid0(VALU_DEP_4)
	v_fma_f32 v25, v8, 2.0, -v16
	v_add_f32_e32 v8, v18, v16
	v_fma_f32 v22, v22, 2.0, -v10
	v_fma_f32 v20, v20, 2.0, -v40
	;; [unrolled: 1-line block ×3, first 2 shown]
	v_sub_f32_e32 v11, v23, v25
	v_fma_f32 v16, v18, 2.0, -v8
	v_sub_f32_e32 v18, v26, v54
	v_fma_f32 v25, v27, 2.0, -v19
	s_delay_alu instid0(VALU_DEP_4) | instskip(NEXT) | instid1(VALU_DEP_3)
	v_fma_f32 v23, v23, 2.0, -v11
	v_fma_f32 v24, v26, 2.0, -v18
	ds_store_2addr_stride64_b64 v102, v[22:23], v[16:17] offset1:1
	ds_store_2addr_stride64_b64 v102, v[10:11], v[8:9] offset0:2 offset1:3
	ds_store_2addr_stride64_b64 v101, v[24:25], v[20:21] offset1:1
	ds_store_2addr_stride64_b64 v101, v[18:19], v[40:41] offset0:2 offset1:3
	global_wb scope:SCOPE_SE
	s_wait_dscnt 0x0
	s_barrier_signal -1
	s_barrier_wait -1
	global_inv scope:SCOPE_SE
	ds_load_2addr_stride64_b64 v[8:11], v96 offset1:4
	ds_load_2addr_stride64_b64 v[20:23], v96 offset0:8 offset1:12
	ds_load_2addr_stride64_b64 v[16:19], v96 offset0:16 offset1:20
	ds_load_b64 v[24:25], v96 offset:12288
	s_and_saveexec_b32 s2, vcc_lo
	s_cbranch_execz .LBB0_7
; %bb.6:
	v_add_nc_u32_e32 v26, 0x100, v96
	ds_load_2addr_stride64_b64 v[40:43], v26 offset0:3 offset1:7
	ds_load_2addr_stride64_b64 v[44:47], v26 offset0:11 offset1:15
	;; [unrolled: 1-line block ×3, first 2 shown]
	ds_load_b64 v[52:53], v96 offset:14080
.LBB0_7:
	s_wait_alu 0xfffe
	s_or_b32 exec_lo, exec_lo, s2
	s_wait_dscnt 0x3
	v_mul_f32_e32 v26, v37, v11
	v_mul_f32_e32 v27, v37, v10
	s_wait_dscnt 0x2
	v_mul_f32_e32 v37, v39, v21
	s_delay_alu instid0(VALU_DEP_3) | instskip(NEXT) | instid1(VALU_DEP_3)
	v_dual_mul_f32 v39, v39, v20 :: v_dual_fmac_f32 v26, v36, v10
	v_fma_f32 v10, v36, v11, -v27
	v_mul_f32_e32 v11, v33, v23
	v_mul_f32_e32 v27, v33, v22
	s_wait_dscnt 0x1
	v_mul_f32_e32 v33, v35, v17
	v_fmac_f32_e32 v37, v38, v20
	v_fma_f32 v20, v38, v21, -v39
	s_delay_alu instid0(VALU_DEP_3) | instskip(SKIP_3) | instid1(VALU_DEP_2)
	v_fmac_f32_e32 v33, v34, v16
	v_dual_mul_f32 v16, v35, v16 :: v_dual_fmac_f32 v11, v32, v22
	s_wait_dscnt 0x0
	v_mul_f32_e32 v22, v31, v25
	v_fma_f32 v16, v34, v17, -v16
	s_delay_alu instid0(VALU_DEP_2) | instskip(SKIP_4) | instid1(VALU_DEP_2)
	v_fmac_f32_e32 v22, v30, v24
	v_fma_f32 v21, v32, v23, -v27
	v_mul_f32_e32 v23, v31, v24
	v_mul_f32_e32 v27, v29, v19
	;; [unrolled: 1-line block ×3, first 2 shown]
	v_fmac_f32_e32 v27, v28, v18
	s_delay_alu instid0(VALU_DEP_2)
	v_fma_f32 v17, v28, v19, -v29
	v_add_f32_e32 v18, v26, v22
	v_sub_f32_e32 v22, v26, v22
	v_add_f32_e32 v26, v21, v16
	v_fma_f32 v23, v30, v25, -v23
	v_add_f32_e32 v24, v20, v17
	v_sub_f32_e32 v17, v20, v17
	s_delay_alu instid0(VALU_DEP_3) | instskip(SKIP_2) | instid1(VALU_DEP_1)
	v_dual_sub_f32 v16, v16, v21 :: v_dual_add_f32 v19, v10, v23
	v_sub_f32_e32 v10, v10, v23
	v_dual_add_f32 v23, v37, v27 :: v_dual_add_f32 v20, v11, v33
	v_dual_sub_f32 v25, v37, v27 :: v_dual_sub_f32 v28, v23, v18
	s_delay_alu instid0(VALU_DEP_4) | instskip(SKIP_1) | instid1(VALU_DEP_4)
	v_add_f32_e32 v27, v24, v19
	v_dual_sub_f32 v29, v24, v19 :: v_dual_sub_f32 v24, v26, v24
	v_dual_add_f32 v21, v23, v18 :: v_dual_sub_f32 v18, v18, v20
	v_sub_f32_e32 v11, v33, v11
	v_add_f32_e32 v31, v16, v17
	v_dual_sub_f32 v33, v16, v17 :: v_dual_sub_f32 v16, v10, v16
	s_delay_alu instid0(VALU_DEP_4) | instskip(SKIP_4) | instid1(VALU_DEP_4)
	v_dual_mul_f32 v18, 0x3f4a47b2, v18 :: v_dual_sub_f32 v23, v20, v23
	v_add_f32_e32 v20, v20, v21
	v_add_f32_e32 v30, v11, v25
	v_dual_sub_f32 v32, v11, v25 :: v_dual_add_f32 v21, v26, v27
	v_mul_f32_e32 v27, 0x3d64c772, v24
	v_dual_add_f32 v8, v8, v20 :: v_dual_sub_f32 v25, v25, v22
	s_delay_alu instid0(VALU_DEP_2) | instskip(NEXT) | instid1(VALU_DEP_2)
	v_fma_f32 v27, 0x3f3bfb3b, v29, -v27
	v_dual_fmamk_f32 v20, v20, 0xbf955555, v8 :: v_dual_sub_f32 v11, v22, v11
	v_add_f32_e32 v22, v30, v22
	v_mul_f32_e32 v30, 0x3f08b237, v32
	v_dual_mul_f32 v32, 0xbf5ff5aa, v25 :: v_dual_sub_f32 v17, v17, v10
	v_add_f32_e32 v10, v31, v10
	v_dual_sub_f32 v19, v19, v26 :: v_dual_mul_f32 v26, 0x3d64c772, v23
	v_mul_f32_e32 v31, 0x3f08b237, v33
	v_fmamk_f32 v23, v23, 0x3d64c772, v18
	v_fma_f32 v18, 0xbf3bfb3b, v28, -v18
	v_fma_f32 v25, 0xbf5ff5aa, v25, -v30
	;; [unrolled: 1-line block ×3, first 2 shown]
	v_fmamk_f32 v28, v11, 0xbeae86e6, v30
	v_fma_f32 v30, 0xbf5ff5aa, v17, -v31
	v_mul_f32_e32 v19, 0x3f4a47b2, v19
	s_delay_alu instid0(VALU_DEP_3) | instskip(NEXT) | instid1(VALU_DEP_3)
	v_fmac_f32_e32 v28, 0xbee1c552, v22
	v_fmac_f32_e32 v30, 0xbee1c552, v10
	v_mul_f32_e32 v33, 0xbf5ff5aa, v17
	s_delay_alu instid0(VALU_DEP_4)
	v_dual_fmamk_f32 v24, v24, 0x3d64c772, v19 :: v_dual_add_f32 v9, v9, v21
	v_fma_f32 v19, 0xbf3bfb3b, v29, -v19
	v_fmamk_f32 v29, v16, 0xbeae86e6, v31
	v_fma_f32 v31, 0x3eae86e6, v11, -v32
	v_fma_f32 v32, 0x3eae86e6, v16, -v33
	v_add_f32_e32 v33, v23, v20
	v_add_f32_e32 v23, v26, v20
	s_delay_alu instid0(VALU_DEP_4) | instskip(NEXT) | instid1(VALU_DEP_4)
	v_dual_add_f32 v26, v18, v20 :: v_dual_fmac_f32 v31, 0xbee1c552, v22
	v_fmac_f32_e32 v32, 0xbee1c552, v10
	s_delay_alu instid0(VALU_DEP_3) | instskip(NEXT) | instid1(VALU_DEP_2)
	v_dual_fmamk_f32 v21, v21, 0xbf955555, v9 :: v_dual_add_f32 v20, v30, v23
	v_add_f32_e32 v16, v32, v26
	s_delay_alu instid0(VALU_DEP_2) | instskip(SKIP_3) | instid1(VALU_DEP_4)
	v_add_f32_e32 v34, v24, v21
	v_dual_add_f32 v24, v27, v21 :: v_dual_fmac_f32 v29, 0xbee1c552, v10
	v_add_f32_e32 v27, v19, v21
	v_fmac_f32_e32 v25, 0xbee1c552, v22
	v_dual_sub_f32 v11, v34, v28 :: v_dual_sub_f32 v18, v23, v30
	s_delay_alu instid0(VALU_DEP_3) | instskip(NEXT) | instid1(VALU_DEP_3)
	v_dual_add_f32 v10, v29, v33 :: v_dual_sub_f32 v17, v27, v31
	v_add_f32_e32 v19, v25, v24
	v_sub_f32_e32 v21, v24, v25
	v_sub_f32_e32 v24, v33, v29
	v_dual_sub_f32 v22, v26, v32 :: v_dual_add_f32 v23, v31, v27
	v_add_f32_e32 v25, v28, v34
	ds_store_2addr_stride64_b64 v96, v[8:9], v[10:11] offset1:4
	ds_store_2addr_stride64_b64 v96, v[16:17], v[18:19] offset0:8 offset1:12
	ds_store_2addr_stride64_b64 v96, v[20:21], v[22:23] offset0:16 offset1:20
	ds_store_b64 v96, v[24:25] offset:12288
	s_and_saveexec_b32 s2, vcc_lo
	s_cbranch_execz .LBB0_9
; %bb.8:
	v_dual_mul_f32 v8, v5, v43 :: v_dual_mul_f32 v9, v3, v49
	v_dual_mul_f32 v10, v1, v47 :: v_dual_mul_f32 v11, v7, v45
	v_dual_mul_f32 v16, v13, v51 :: v_dual_mul_f32 v17, v15, v53
	s_delay_alu instid0(VALU_DEP_2) | instskip(NEXT) | instid1(VALU_DEP_2)
	v_dual_fmac_f32 v9, v2, v48 :: v_dual_fmac_f32 v10, v0, v46
	v_dual_fmac_f32 v11, v6, v44 :: v_dual_fmac_f32 v16, v12, v50
	v_dual_mul_f32 v3, v3, v48 :: v_dual_fmac_f32 v8, v4, v42
	s_delay_alu instid0(VALU_DEP_3) | instskip(NEXT) | instid1(VALU_DEP_3)
	v_dual_fmac_f32 v17, v14, v52 :: v_dual_sub_f32 v18, v9, v10
	v_sub_f32_e32 v19, v11, v16
	v_add_f32_e32 v11, v16, v11
	v_mul_f32_e32 v1, v1, v46
	v_fma_f32 v2, v2, v49, -v3
	v_dual_mul_f32 v15, v15, v52 :: v_dual_sub_f32 v20, v8, v17
	v_add_f32_e32 v8, v17, v8
	s_delay_alu instid0(VALU_DEP_4) | instskip(NEXT) | instid1(VALU_DEP_3)
	v_fma_f32 v0, v0, v47, -v1
	v_fma_f32 v14, v14, v53, -v15
	v_mul_f32_e32 v5, v5, v42
	s_delay_alu instid0(VALU_DEP_3) | instskip(SKIP_1) | instid1(VALU_DEP_3)
	v_dual_add_f32 v1, v0, v2 :: v_dual_sub_f32 v2, v2, v0
	v_mul_f32_e32 v7, v7, v44
	v_fma_f32 v4, v4, v43, -v5
	s_delay_alu instid0(VALU_DEP_2) | instskip(SKIP_1) | instid1(VALU_DEP_1)
	v_fma_f32 v6, v6, v45, -v7
	v_add_f32_e32 v7, v18, v19
	v_add_f32_e32 v7, v7, v20
	v_sub_f32_e32 v15, v20, v18
	v_mul_f32_e32 v13, v13, v50
	s_delay_alu instid0(VALU_DEP_1) | instskip(SKIP_3) | instid1(VALU_DEP_4)
	v_fma_f32 v5, v12, v51, -v13
	v_add_f32_e32 v12, v14, v4
	v_sub_f32_e32 v21, v18, v19
	v_dual_sub_f32 v19, v19, v20 :: v_dual_sub_f32 v4, v4, v14
	v_add_f32_e32 v13, v5, v6
	v_sub_f32_e32 v5, v6, v5
	v_sub_f32_e32 v22, v12, v1
	s_delay_alu instid0(VALU_DEP_4) | instskip(SKIP_3) | instid1(VALU_DEP_2)
	v_mul_f32_e32 v26, 0xbf5ff5aa, v19
	v_mul_f32_e32 v21, 0x3f08b237, v21
	v_add_f32_e32 v3, v13, v12
	v_dual_sub_f32 v16, v1, v13 :: v_dual_sub_f32 v25, v4, v2
	v_dual_fmamk_f32 v18, v15, 0xbeae86e6, v21 :: v_dual_add_f32 v3, v1, v3
	s_delay_alu instid0(VALU_DEP_1) | instskip(NEXT) | instid1(VALU_DEP_1)
	v_add_f32_e32 v1, v41, v3
	v_dual_fmamk_f32 v24, v3, 0xbf955555, v1 :: v_dual_add_f32 v9, v10, v9
	v_add_f32_e32 v10, v11, v8
	v_sub_f32_e32 v12, v13, v12
	s_delay_alu instid0(VALU_DEP_2)
	v_add_f32_e32 v3, v9, v10
	v_mul_f32_e32 v17, 0x3f4a47b2, v22
	v_mul_f32_e32 v22, 0x3d64c772, v16
	v_sub_f32_e32 v10, v2, v5
	v_add_f32_e32 v2, v2, v5
	v_add_f32_e32 v0, v40, v3
	v_fmamk_f32 v16, v16, 0x3d64c772, v17
	s_delay_alu instid0(VALU_DEP_4) | instskip(NEXT) | instid1(VALU_DEP_4)
	v_mul_f32_e32 v10, 0x3f08b237, v10
	v_add_f32_e32 v2, v2, v4
	s_delay_alu instid0(VALU_DEP_3) | instskip(NEXT) | instid1(VALU_DEP_3)
	v_add_f32_e32 v14, v16, v24
	v_dual_sub_f32 v23, v8, v9 :: v_dual_fmamk_f32 v20, v25, 0xbeae86e6, v10
	v_sub_f32_e32 v9, v9, v11
	s_delay_alu instid0(VALU_DEP_2) | instskip(SKIP_3) | instid1(VALU_DEP_4)
	v_mul_f32_e32 v6, 0x3f4a47b2, v23
	v_fmamk_f32 v23, v3, 0xbf955555, v0
	v_fmac_f32_e32 v18, 0xbee1c552, v7
	v_fmac_f32_e32 v20, 0xbee1c552, v2
	v_fmamk_f32 v16, v9, 0x3d64c772, v6
	v_dual_sub_f32 v8, v11, v8 :: v_dual_mul_f32 v9, 0x3d64c772, v9
	v_fma_f32 v11, 0x3eae86e6, v15, -v26
	s_delay_alu instid0(VALU_DEP_3) | instskip(NEXT) | instid1(VALU_DEP_3)
	v_add_f32_e32 v16, v16, v23
	v_fma_f32 v6, 0xbf3bfb3b, v8, -v6
	v_sub_f32_e32 v5, v5, v4
	v_fma_f32 v4, 0xbf3bfb3b, v12, -v17
	s_delay_alu instid0(VALU_DEP_2) | instskip(NEXT) | instid1(VALU_DEP_2)
	v_dual_add_f32 v6, v6, v23 :: v_dual_mul_f32 v13, 0xbf5ff5aa, v5
	v_add_f32_e32 v15, v4, v24
	v_fma_f32 v4, 0x3f3bfb3b, v12, -v22
	v_fma_f32 v12, 0xbf5ff5aa, v19, -v21
	;; [unrolled: 1-line block ×5, first 2 shown]
	v_dual_add_f32 v3, v18, v14 :: v_dual_add_f32 v8, v4, v24
	s_delay_alu instid0(VALU_DEP_4) | instskip(NEXT) | instid1(VALU_DEP_4)
	v_dual_fmac_f32 v12, 0xbee1c552, v7 :: v_dual_fmac_f32 v19, 0xbee1c552, v2
	v_fmac_f32_e32 v17, 0xbee1c552, v2
	v_fmac_f32_e32 v11, 0xbee1c552, v7
	s_delay_alu instid0(VALU_DEP_3) | instskip(SKIP_2) | instid1(VALU_DEP_3)
	v_dual_add_f32 v2, v5, v23 :: v_dual_sub_f32 v7, v8, v12
	v_add_f32_e32 v9, v12, v8
	v_dual_sub_f32 v13, v14, v18 :: v_dual_add_f32 v12, v20, v16
	v_sub_f32_e32 v8, v2, v19
	v_dual_sub_f32 v4, v6, v17 :: v_dual_add_f32 v5, v11, v15
	v_dual_sub_f32 v11, v15, v11 :: v_dual_add_nc_u32 v14, 0x100, v96
	v_add_f32_e32 v10, v17, v6
	v_add_f32_e32 v6, v19, v2
	v_sub_f32_e32 v2, v16, v20
	ds_store_2addr_stride64_b64 v14, v[0:1], v[12:13] offset0:3 offset1:7
	ds_store_2addr_stride64_b64 v14, v[10:11], v[8:9] offset0:11 offset1:15
	;; [unrolled: 1-line block ×3, first 2 shown]
	ds_store_b64 v96, v[2:3] offset:14080
.LBB0_9:
	s_wait_alu 0xfffe
	s_or_b32 exec_lo, exec_lo, s2
	v_add_nc_u32_e32 v4, 0xe00, v96
	v_add_nc_u32_e32 v8, 0x1c00, v96
	v_add_nc_u32_e32 v12, 0x2a00, v96
	global_wb scope:SCOPE_SE
	s_wait_dscnt 0x0
	s_barrier_signal -1
	s_barrier_wait -1
	global_inv scope:SCOPE_SE
	ds_load_2addr_b64 v[0:3], v96 offset1:224
	v_mad_co_u64_u32 v[32:33], null, s6, v64, 0
	v_mad_co_u64_u32 v[34:35], null, s4, v95, 0
	ds_load_2addr_b64 v[4:7], v4 offset1:224
	ds_load_2addr_b64 v[8:11], v8 offset1:224
	;; [unrolled: 1-line block ×3, first 2 shown]
	s_mov_b32 s2, 0x92492492
	s_mov_b32 s3, 0x3f424924
	v_mad_co_u64_u32 v[36:37], null, s7, v64, v[33:34]
	s_delay_alu instid0(VALU_DEP_1)
	v_mad_co_u64_u32 v[37:38], null, s5, v95, v[35:36]
	s_wait_dscnt 0x3
	v_mul_f32_e32 v16, v76, v1
	v_dual_mul_f32 v17, v76, v0 :: v_dual_mul_f32 v22, v78, v3
	s_wait_dscnt 0x2
	v_mul_f32_e32 v26, v66, v7
	v_dual_mul_f32 v20, v78, v2 :: v_dual_mul_f32 v19, v80, v4
	s_wait_dscnt 0x1
	v_mul_f32_e32 v21, v68, v9
	v_mul_f32_e32 v18, v80, v5
	s_wait_dscnt 0x0
	v_dual_mul_f32 v23, v68, v8 :: v_dual_mul_f32 v24, v70, v13
	v_mul_f32_e32 v25, v70, v12
	v_dual_fmac_f32 v16, v75, v0 :: v_dual_mov_b32 v33, v36
	v_fma_f32 v17, v75, v1, -v17
	v_mov_b32_e32 v35, v37
	v_fmac_f32_e32 v26, v65, v6
	v_mul_f32_e32 v6, v66, v6
	v_fma_f32 v19, v79, v5, -v19
	v_fmac_f32_e32 v21, v67, v8
	v_fmac_f32_e32 v18, v79, v4
	v_mul_f32_e32 v28, v74, v11
	v_mul_f32_e32 v29, v74, v10
	v_fma_f32 v23, v67, v9, -v23
	v_mul_f32_e32 v30, v72, v15
	v_dual_mul_f32 v31, v72, v14 :: v_dual_fmac_f32 v24, v69, v12
	v_fma_f32 v25, v69, v13, -v25
	v_fmac_f32_e32 v22, v77, v2
	v_fma_f32 v27, v77, v3, -v20
	v_cvt_f64_f32_e32 v[0:1], v16
	v_cvt_f64_f32_e32 v[16:17], v17
	v_fma_f32 v6, v65, v7, -v6
	v_cvt_f64_f32_e32 v[4:5], v18
	v_cvt_f64_f32_e32 v[8:9], v19
	v_fmac_f32_e32 v28, v73, v10
	v_fma_f32 v29, v73, v11, -v29
	v_cvt_f64_f32_e32 v[12:13], v21
	v_cvt_f64_f32_e32 v[18:19], v23
	v_fmac_f32_e32 v30, v71, v14
	v_fma_f32 v31, v71, v15, -v31
	v_cvt_f64_f32_e32 v[2:3], v24
	v_cvt_f64_f32_e32 v[20:21], v25
	;; [unrolled: 1-line block ×10, first 2 shown]
	v_lshlrev_b64_e32 v[32:33], 3, v[32:33]
	v_lshlrev_b64_e32 v[34:35], 3, v[34:35]
	s_delay_alu instid0(VALU_DEP_2) | instskip(SKIP_1) | instid1(VALU_DEP_3)
	v_add_co_u32 v32, vcc_lo, s0, v32
	s_wait_alu 0xfffd
	v_add_co_ci_u32_e32 v33, vcc_lo, s1, v33, vcc_lo
	s_mul_u64 s[0:1], s[4:5], 0xe00
	s_delay_alu instid0(VALU_DEP_2) | instskip(SKIP_1) | instid1(VALU_DEP_2)
	v_add_co_u32 v32, vcc_lo, v32, v34
	s_wait_alu 0xfffd
	v_add_co_ci_u32_e32 v33, vcc_lo, v33, v35, vcc_lo
	s_wait_alu 0xfffe
	s_delay_alu instid0(VALU_DEP_2)
	v_add_co_u32 v34, vcc_lo, v32, s0
	v_mul_f64_e32 v[0:1], s[2:3], v[0:1]
	v_mul_f64_e32 v[16:17], s[2:3], v[16:17]
	;; [unrolled: 1-line block ×4, first 2 shown]
	s_wait_alu 0xfffd
	v_add_co_ci_u32_e32 v35, vcc_lo, s1, v33, vcc_lo
	v_mul_f64_e32 v[12:13], s[2:3], v[12:13]
	v_mul_f64_e32 v[18:19], s[2:3], v[18:19]
	;; [unrolled: 1-line block ×12, first 2 shown]
	s_mul_i32 s2, s5, 0xffffdd00
	s_wait_alu 0xfffe
	s_sub_co_i32 s2, s2, s4
	v_cvt_f32_f64_e32 v0, v[0:1]
	v_cvt_f32_f64_e32 v1, v[16:17]
	;; [unrolled: 1-line block ×6, first 2 shown]
	v_add_co_u32 v12, vcc_lo, v34, s0
	v_cvt_f32_f64_e32 v2, v[2:3]
	v_cvt_f32_f64_e32 v3, v[20:21]
	;; [unrolled: 1-line block ×4, first 2 shown]
	s_wait_alu 0xfffd
	v_add_co_ci_u32_e32 v13, vcc_lo, s1, v35, vcc_lo
	v_cvt_f32_f64_e32 v18, v[26:27]
	v_cvt_f32_f64_e32 v19, v[6:7]
	;; [unrolled: 1-line block ×6, first 2 shown]
	v_add_co_u32 v14, vcc_lo, v12, s0
	s_wait_alu 0xfffd
	v_add_co_ci_u32_e32 v15, vcc_lo, s1, v13, vcc_lo
	s_delay_alu instid0(VALU_DEP_1) | instskip(SKIP_1) | instid1(VALU_DEP_1)
	v_mad_co_u64_u32 v[20:21], null, 0xffffdd00, s4, v[14:15]
	s_wait_alu 0xfffe
	v_add_nc_u32_e32 v21, s2, v21
	s_delay_alu instid0(VALU_DEP_2) | instskip(SKIP_1) | instid1(VALU_DEP_2)
	v_add_co_u32 v22, vcc_lo, v20, s0
	s_wait_alu 0xfffd
	v_add_co_ci_u32_e32 v23, vcc_lo, s1, v21, vcc_lo
	s_delay_alu instid0(VALU_DEP_2) | instskip(SKIP_1) | instid1(VALU_DEP_2)
	v_add_co_u32 v24, vcc_lo, v22, s0
	s_wait_alu 0xfffd
	v_add_co_ci_u32_e32 v25, vcc_lo, s1, v23, vcc_lo
	;; [unrolled: 4-line block ×3, first 2 shown]
	s_clause 0x4
	global_store_b64 v[32:33], v[0:1], off
	global_store_b64 v[34:35], v[4:5], off
	;; [unrolled: 1-line block ×8, first 2 shown]
.LBB0_10:
	s_nop 0
	s_sendmsg sendmsg(MSG_DEALLOC_VGPRS)
	s_endpgm
	.section	.rodata,"a",@progbits
	.p2align	6, 0x0
	.amdhsa_kernel bluestein_single_fwd_len1792_dim1_sp_op_CI_CI
		.amdhsa_group_segment_fixed_size 14336
		.amdhsa_private_segment_fixed_size 0
		.amdhsa_kernarg_size 104
		.amdhsa_user_sgpr_count 2
		.amdhsa_user_sgpr_dispatch_ptr 0
		.amdhsa_user_sgpr_queue_ptr 0
		.amdhsa_user_sgpr_kernarg_segment_ptr 1
		.amdhsa_user_sgpr_dispatch_id 0
		.amdhsa_user_sgpr_private_segment_size 0
		.amdhsa_wavefront_size32 1
		.amdhsa_uses_dynamic_stack 0
		.amdhsa_enable_private_segment 0
		.amdhsa_system_sgpr_workgroup_id_x 1
		.amdhsa_system_sgpr_workgroup_id_y 0
		.amdhsa_system_sgpr_workgroup_id_z 0
		.amdhsa_system_sgpr_workgroup_info 0
		.amdhsa_system_vgpr_workitem_id 0
		.amdhsa_next_free_vgpr 126
		.amdhsa_next_free_sgpr 16
		.amdhsa_reserve_vcc 1
		.amdhsa_float_round_mode_32 0
		.amdhsa_float_round_mode_16_64 0
		.amdhsa_float_denorm_mode_32 3
		.amdhsa_float_denorm_mode_16_64 3
		.amdhsa_fp16_overflow 0
		.amdhsa_workgroup_processor_mode 1
		.amdhsa_memory_ordered 1
		.amdhsa_forward_progress 0
		.amdhsa_round_robin_scheduling 0
		.amdhsa_exception_fp_ieee_invalid_op 0
		.amdhsa_exception_fp_denorm_src 0
		.amdhsa_exception_fp_ieee_div_zero 0
		.amdhsa_exception_fp_ieee_overflow 0
		.amdhsa_exception_fp_ieee_underflow 0
		.amdhsa_exception_fp_ieee_inexact 0
		.amdhsa_exception_int_div_zero 0
	.end_amdhsa_kernel
	.text
.Lfunc_end0:
	.size	bluestein_single_fwd_len1792_dim1_sp_op_CI_CI, .Lfunc_end0-bluestein_single_fwd_len1792_dim1_sp_op_CI_CI
                                        ; -- End function
	.section	.AMDGPU.csdata,"",@progbits
; Kernel info:
; codeLenInByte = 8932
; NumSgprs: 18
; NumVgprs: 126
; ScratchSize: 0
; MemoryBound: 0
; FloatMode: 240
; IeeeMode: 1
; LDSByteSize: 14336 bytes/workgroup (compile time only)
; SGPRBlocks: 2
; VGPRBlocks: 15
; NumSGPRsForWavesPerEU: 18
; NumVGPRsForWavesPerEU: 126
; Occupancy: 10
; WaveLimiterHint : 1
; COMPUTE_PGM_RSRC2:SCRATCH_EN: 0
; COMPUTE_PGM_RSRC2:USER_SGPR: 2
; COMPUTE_PGM_RSRC2:TRAP_HANDLER: 0
; COMPUTE_PGM_RSRC2:TGID_X_EN: 1
; COMPUTE_PGM_RSRC2:TGID_Y_EN: 0
; COMPUTE_PGM_RSRC2:TGID_Z_EN: 0
; COMPUTE_PGM_RSRC2:TIDIG_COMP_CNT: 0
	.text
	.p2alignl 7, 3214868480
	.fill 96, 4, 3214868480
	.type	__hip_cuid_4bc9648397964d19,@object ; @__hip_cuid_4bc9648397964d19
	.section	.bss,"aw",@nobits
	.globl	__hip_cuid_4bc9648397964d19
__hip_cuid_4bc9648397964d19:
	.byte	0                               ; 0x0
	.size	__hip_cuid_4bc9648397964d19, 1

	.ident	"AMD clang version 19.0.0git (https://github.com/RadeonOpenCompute/llvm-project roc-6.4.0 25133 c7fe45cf4b819c5991fe208aaa96edf142730f1d)"
	.section	".note.GNU-stack","",@progbits
	.addrsig
	.addrsig_sym __hip_cuid_4bc9648397964d19
	.amdgpu_metadata
---
amdhsa.kernels:
  - .args:
      - .actual_access:  read_only
        .address_space:  global
        .offset:         0
        .size:           8
        .value_kind:     global_buffer
      - .actual_access:  read_only
        .address_space:  global
        .offset:         8
        .size:           8
        .value_kind:     global_buffer
      - .actual_access:  read_only
        .address_space:  global
        .offset:         16
        .size:           8
        .value_kind:     global_buffer
      - .actual_access:  read_only
        .address_space:  global
        .offset:         24
        .size:           8
        .value_kind:     global_buffer
      - .actual_access:  read_only
        .address_space:  global
        .offset:         32
        .size:           8
        .value_kind:     global_buffer
      - .offset:         40
        .size:           8
        .value_kind:     by_value
      - .address_space:  global
        .offset:         48
        .size:           8
        .value_kind:     global_buffer
      - .address_space:  global
        .offset:         56
        .size:           8
        .value_kind:     global_buffer
      - .address_space:  global
        .offset:         64
        .size:           8
        .value_kind:     global_buffer
      - .address_space:  global
        .offset:         72
        .size:           8
        .value_kind:     global_buffer
      - .offset:         80
        .size:           4
        .value_kind:     by_value
      - .address_space:  global
        .offset:         88
        .size:           8
        .value_kind:     global_buffer
      - .address_space:  global
        .offset:         96
        .size:           8
        .value_kind:     global_buffer
    .group_segment_fixed_size: 14336
    .kernarg_segment_align: 8
    .kernarg_segment_size: 104
    .language:       OpenCL C
    .language_version:
      - 2
      - 0
    .max_flat_workgroup_size: 224
    .name:           bluestein_single_fwd_len1792_dim1_sp_op_CI_CI
    .private_segment_fixed_size: 0
    .sgpr_count:     18
    .sgpr_spill_count: 0
    .symbol:         bluestein_single_fwd_len1792_dim1_sp_op_CI_CI.kd
    .uniform_work_group_size: 1
    .uses_dynamic_stack: false
    .vgpr_count:     126
    .vgpr_spill_count: 0
    .wavefront_size: 32
    .workgroup_processor_mode: 1
amdhsa.target:   amdgcn-amd-amdhsa--gfx1201
amdhsa.version:
  - 1
  - 2
...

	.end_amdgpu_metadata
